;; amdgpu-corpus repo=FlagOpen/FlagGems kind=triton arch=gfx950 opt=O3 lang=triton
	.amdgcn_target "amdgcn-amd-amdhsa--gfx950"
	.amdhsa_code_object_version 5
	.text
	.globl	celoss_indices_kernel           ; -- Begin function celoss_indices_kernel
	.p2align	8
	.type	celoss_indices_kernel,@function
celoss_indices_kernel:                  ; @celoss_indices_kernel
.Lfunc_begin0:
	.cfi_sections .debug_frame
	.cfi_startproc
; %bb.44:
	.file	1 "/root/src/amdgpu-assembly/repos/FlagOpen__FlagGems/triton_aot_kernels" "cross_entropy_loss_aot.py"
	.loc	1 8 0 prologue_end              ; cross_entropy_loss_aot.py:8:0
	s_load_dwordx2 s[2:3], s[0:1], 0x0
	s_load_dwordx8 s[4:11], s[0:1], 0x8
	s_load_dwordx2 s[12:13], s[0:1], 0x28
	s_load_dword s14, s[0:1], 0x30
	s_waitcnt lgkmcnt(0)
	s_branch .LBB0_0
	.loc	1 0 0 is_stmt 0                 ; :0:0
.Ltmp0:
	.p2align	8
; %bb.45:
.LBB0_0:
.Ltmp1:
	.loc	1 24 33 is_stmt 1               ; cross_entropy_loss_aot.py:24:33
	s_mul_i32 s20, s14, s16
	.loc	1 24 25 is_stmt 0               ; cross_entropy_loss_aot.py:24:25
	s_ashr_i32 s21, s20, 31
	s_lshl_b64 s[0:1], s[20:21], 3
	s_add_u32 s4, s4, s0
	s_mov_b32 s18, s15
	s_addc_u32 s5, s5, s1
	.loc	1 24 37                         ; cross_entropy_loss_aot.py:24:37
	s_ashr_i32 s19, s15, 31
	s_lshl_b64 s[0:1], s[18:19], 3
	s_add_u32 s4, s4, s0
	s_addc_u32 s5, s5, s1
	.loc	1 25 26 is_stmt 1               ; cross_entropy_loss_aot.py:25:26
	s_cmp_lt_i32 s15, s14
	.loc	1 60 23                         ; cross_entropy_loss_aot.py:60:23
	v_readfirstlane_b32 s17, v0
	s_mov_b64 s[24:25], 0
	.loc	1 25 26                         ; cross_entropy_loss_aot.py:25:26
	s_cselect_b64 s[22:23], -1, 0
	s_cmp_ge_i32 s15, s14
	s_mov_b64 s[26:27], 0
	.loc	1 26 18                         ; cross_entropy_loss_aot.py:26:18
	s_cbranch_scc1 .LBB0_2
; %bb.1:
	s_load_dwordx2 s[26:27], s[4:5], 0x0
.LBB0_2:
	v_cndmask_b32_e64 v1, 0, 1, s[22:23]
	v_cmp_ne_u32_e64 s[0:1], 1, v1
	s_andn2_b64 vcc, exec, s[22:23]
	s_cbranch_vccnz .LBB0_4
; %bb.3:
	s_load_dwordx2 s[24:25], s[4:5], 0x0
.LBB0_4:
	.loc	1 35 41                         ; cross_entropy_loss_aot.py:35:41
	s_mul_i32 s4, s20, s13
	.loc	1 35 29 is_stmt 0               ; cross_entropy_loss_aot.py:35:29
	s_ashr_i32 s5, s4, 31
	.loc	1 34 38 is_stmt 1               ; cross_entropy_loss_aot.py:34:38
	s_and_b32 s15, s17, 0x1c0
	.loc	1 35 29                         ; cross_entropy_loss_aot.py:35:29
	s_lshl_b64 s[4:5], s[4:5], 2
	s_add_u32 s30, s2, s4
	s_addc_u32 s31, s3, s5
	.loc	1 34 38                         ; cross_entropy_loss_aot.py:34:38
	v_and_b32_e32 v1, 63, v0
	.loc	1 33 27                         ; cross_entropy_loss_aot.py:33:27
	s_cmp_lt_i32 s13, 1
	v_mov_b32_e32 v9, 0
	v_mov_b32_e32 v8, 0
	;; [unrolled: 1-line block ×16, first 2 shown]
	s_cbranch_scc1 .LBB0_23
; %bb.5:                                ; %.lr.ph.preheader
	.loc	1 37 32                         ; cross_entropy_loss_aot.py:37:32
	v_add_u32_e32 v10, s15, v1
	v_add_u32_e32 v2, 0xe00, v10
	v_mul_lo_u32 v12, s14, v2
	v_or_b32_e32 v2, 0xc00, v10
	v_mul_lo_u32 v13, s14, v2
	v_add_u32_e32 v2, 0xa00, v10
	v_mul_lo_u32 v14, s14, v2
	v_or_b32_e32 v2, 0x800, v10
	v_mul_lo_u32 v15, s14, v2
	v_add_u32_e32 v2, 0x600, v10
	v_mul_lo_u32 v16, s14, v2
	v_or_b32_e32 v2, 0x400, v10
	.loc	1 33 27                         ; cross_entropy_loss_aot.py:33:27
	s_lshl_b64 s[2:3], s[18:19], 2
	.loc	1 37 32                         ; cross_entropy_loss_aot.py:37:32
	v_mul_lo_u32 v17, s14, v2
	v_add_u32_e32 v2, 0x200, v10
	.loc	1 33 27                         ; cross_entropy_loss_aot.py:33:27
	s_add_u32 s4, s30, s2
	.loc	1 37 32                         ; cross_entropy_loss_aot.py:37:32
	v_mul_lo_u32 v18, s14, v2
	v_mov_b32_e32 v2, 0
	.loc	1 33 27                         ; cross_entropy_loss_aot.py:33:27
	s_addc_u32 s5, s31, s3
	.loc	1 37 32                         ; cross_entropy_loss_aot.py:37:32
	v_mul_lo_u32 v11, s14, v10
	s_lshl_b32 s16, s14, 12
	s_mov_b32 s28, 0
	v_mov_b32_e32 v29, 0
	v_mov_b32_e32 v30, 0
	;; [unrolled: 1-line block ×8, first 2 shown]
	s_mov_b32 s29, 0xc2fc0000
	v_mov_b32_e32 v19, 0x42800000
	v_not_b32_e32 v20, 63
	s_mov_b32 s33, 0
	v_mov_b32_e32 v3, v2
	v_mov_b32_e32 v4, v2
	;; [unrolled: 1-line block ×7, first 2 shown]
	s_branch .LBB0_7
.LBB0_6:                                ;   in Loop: Header=BB0_7 Depth=1
	.loc	1 0 32 is_stmt 0                ; cross_entropy_loss_aot.py:0:32
	s_or_b64 exec, exec, s[2:3]
	.loc	1 38 38 is_stmt 1               ; cross_entropy_loss_aot.py:38:38
	s_waitcnt vmcnt(0)
	v_max_f32_e32 v21, v38, v38
	v_max_f32_e32 v22, v29, v29
	;; [unrolled: 1-line block ×23, first 2 shown]
	.loc	1 39 31                         ; cross_entropy_loss_aot.py:39:31
	v_sub_f32_e32 v38, v38, v21
	.loc	1 38 38                         ; cross_entropy_loss_aot.py:38:38
	v_max_f32_e32 v28, v45, v28
	.loc	1 39 31                         ; cross_entropy_loss_aot.py:39:31
	v_sub_f32_e32 v45, v39, v24
	.loc	1 39 25 is_stmt 0               ; cross_entropy_loss_aot.py:39:25
	v_mul_f32_e32 v39, 0x3fb8aa3b, v38
	v_cmp_gt_f32_e32 vcc, s29, v39
	.loc	1 39 31                         ; cross_entropy_loss_aot.py:39:31
	v_sub_f32_e32 v37, v37, v22
	v_sub_f32_e32 v40, v40, v23
	.loc	1 39 25                         ; cross_entropy_loss_aot.py:39:25
	v_cndmask_b32_e32 v39, 0, v19, vcc
	v_fmac_f32_e32 v39, 0x3fb8aa3b, v38
	v_exp_f32_e32 v38, v39
	v_mul_f32_e32 v39, 0x3fb8aa3b, v37
	v_cmp_gt_f32_e64 s[2:3], s29, v39
	.loc	1 39 31                         ; cross_entropy_loss_aot.py:39:31
	v_sub_f32_e32 v46, v41, v26
	v_sub_f32_e32 v42, v42, v25
	.loc	1 39 25                         ; cross_entropy_loss_aot.py:39:25
	v_cndmask_b32_e64 v39, 0, v19, s[2:3]
	v_fmac_f32_e32 v39, 0x3fb8aa3b, v37
	v_exp_f32_e32 v37, v39
	v_cndmask_b32_e32 v39, 0, v20, vcc
	v_ldexp_f32 v38, v38, v39
	v_cndmask_b32_e64 v39, 0, v20, s[2:3]
	v_ldexp_f32 v39, v37, v39
	v_mul_f32_e32 v37, 0x3fb8aa3b, v40
	v_cmp_gt_f32_e32 vcc, s29, v37
	.loc	1 39 31                         ; cross_entropy_loss_aot.py:39:31
	v_sub_f32_e32 v47, v43, v28
	v_sub_f32_e32 v44, v44, v27
	.loc	1 39 25                         ; cross_entropy_loss_aot.py:39:25
	v_cndmask_b32_e32 v37, 0, v19, vcc
	v_fmac_f32_e32 v37, 0x3fb8aa3b, v40
	v_mul_f32_e32 v40, 0x3fb8aa3b, v45
	v_cmp_gt_f32_e64 s[2:3], s29, v40
	v_exp_f32_e32 v37, v37
	.loc	1 40 45 is_stmt 1               ; cross_entropy_loss_aot.py:40:45
	v_sub_f32_e32 v29, v29, v21
	.loc	1 39 25                         ; cross_entropy_loss_aot.py:39:25
	v_cndmask_b32_e64 v40, 0, v19, s[2:3]
	v_fmac_f32_e32 v40, 0x3fb8aa3b, v45
	v_exp_f32_e32 v41, v40
	v_cndmask_b32_e32 v40, 0, v20, vcc
	v_ldexp_f32 v40, v37, v40
	v_cndmask_b32_e64 v37, 0, v20, s[2:3]
	v_ldexp_f32 v41, v41, v37
	v_mul_f32_e32 v37, 0x3fb8aa3b, v42
	v_cmp_gt_f32_e32 vcc, s29, v37
	.loc	1 40 45                         ; cross_entropy_loss_aot.py:40:45
	v_sub_f32_e32 v30, v30, v22
	v_sub_f32_e32 v32, v32, v24
	.loc	1 39 25                         ; cross_entropy_loss_aot.py:39:25
	v_cndmask_b32_e32 v37, 0, v19, vcc
	v_fmac_f32_e32 v37, 0x3fb8aa3b, v42
	v_mul_f32_e32 v42, 0x3fb8aa3b, v46
	v_cmp_gt_f32_e64 s[2:3], s29, v42
	v_exp_f32_e32 v37, v37
	.loc	1 40 45                         ; cross_entropy_loss_aot.py:40:45
	v_sub_f32_e32 v34, v34, v26
	.loc	1 39 25                         ; cross_entropy_loss_aot.py:39:25
	v_cndmask_b32_e64 v42, 0, v19, s[2:3]
	v_fmac_f32_e32 v42, 0x3fb8aa3b, v46
	v_exp_f32_e32 v43, v42
	v_cndmask_b32_e32 v42, 0, v20, vcc
	v_ldexp_f32 v42, v37, v42
	v_cndmask_b32_e64 v37, 0, v20, s[2:3]
	v_ldexp_f32 v43, v43, v37
	v_mul_f32_e32 v37, 0x3fb8aa3b, v44
	v_cmp_gt_f32_e32 vcc, s29, v37
	.loc	1 40 45                         ; cross_entropy_loss_aot.py:40:45
	v_sub_f32_e32 v46, v33, v25
	.loc	1 40 35 is_stmt 0               ; cross_entropy_loss_aot.py:40:35
	v_mul_f32_e32 v33, 0x3fb8aa3b, v32
	.loc	1 39 25 is_stmt 1               ; cross_entropy_loss_aot.py:39:25
	v_cndmask_b32_e32 v37, 0, v19, vcc
	v_fmac_f32_e32 v37, 0x3fb8aa3b, v44
	v_mul_f32_e32 v44, 0x3fb8aa3b, v47
	v_cmp_gt_f32_e64 s[2:3], s29, v44
	v_exp_f32_e32 v37, v37
	.loc	1 40 45                         ; cross_entropy_loss_aot.py:40:45
	v_sub_f32_e32 v36, v36, v28
	.loc	1 39 25                         ; cross_entropy_loss_aot.py:39:25
	v_cndmask_b32_e64 v44, 0, v19, s[2:3]
	v_fmac_f32_e32 v44, 0x3fb8aa3b, v47
	v_exp_f32_e32 v45, v44
	v_cndmask_b32_e32 v44, 0, v20, vcc
	v_ldexp_f32 v44, v37, v44
	v_cndmask_b32_e64 v37, 0, v20, s[2:3]
	v_ldexp_f32 v45, v45, v37
	.loc	1 40 45                         ; cross_entropy_loss_aot.py:40:45
	v_sub_f32_e32 v37, v31, v23
	.loc	1 40 35 is_stmt 0               ; cross_entropy_loss_aot.py:40:35
	v_mul_f32_e32 v31, 0x3fb8aa3b, v29
	v_cmp_gt_f32_e32 vcc, s29, v31
	.loc	1 40 45                         ; cross_entropy_loss_aot.py:40:45
	v_sub_f32_e32 v47, v35, v27
	.loc	1 40 35                         ; cross_entropy_loss_aot.py:40:35
	v_mul_f32_e32 v35, 0x3fb8aa3b, v34
	v_cndmask_b32_e32 v31, 0, v19, vcc
	v_fmac_f32_e32 v31, 0x3fb8aa3b, v29
	v_exp_f32_e32 v29, v31
	v_mul_f32_e32 v31, 0x3fb8aa3b, v30
	v_cmp_gt_f32_e64 s[2:3], s29, v31
	.loc	1 33 27 is_stmt 1               ; cross_entropy_loss_aot.py:33:27
	s_addk_i32 s33, 0x1000
	s_add_i32 s28, s28, s16
	.loc	1 40 35                         ; cross_entropy_loss_aot.py:40:35
	v_cndmask_b32_e64 v31, 0, v19, s[2:3]
	v_fmac_f32_e32 v31, 0x3fb8aa3b, v30
	v_exp_f32_e32 v31, v31
	v_cndmask_b32_e32 v30, 0, v20, vcc
	v_ldexp_f32 v30, v29, v30
	v_cndmask_b32_e64 v29, 0, v20, s[2:3]
	v_ldexp_f32 v31, v31, v29
	v_mul_f32_e32 v29, 0x3fb8aa3b, v37
	v_cmp_gt_f32_e32 vcc, s29, v29
	v_cmp_gt_f32_e64 s[2:3], s29, v33
	.loc	1 40 56 is_stmt 0               ; cross_entropy_loss_aot.py:40:56
	v_pk_fma_f32 v[8:9], v[8:9], v[30:31], v[38:39]
	.loc	1 40 35                         ; cross_entropy_loss_aot.py:40:35
	v_cndmask_b32_e32 v29, 0, v19, vcc
	v_fmac_f32_e32 v29, 0x3fb8aa3b, v37
	v_cndmask_b32_e64 v33, 0, v19, s[2:3]
	v_exp_f32_e32 v29, v29
	v_fmac_f32_e32 v33, 0x3fb8aa3b, v32
	v_exp_f32_e32 v33, v33
	v_cndmask_b32_e32 v32, 0, v20, vcc
	v_ldexp_f32 v32, v29, v32
	v_cndmask_b32_e64 v29, 0, v20, s[2:3]
	v_ldexp_f32 v33, v33, v29
	v_mul_f32_e32 v29, 0x3fb8aa3b, v46
	v_cmp_gt_f32_e32 vcc, s29, v29
	v_cmp_gt_f32_e64 s[2:3], s29, v35
	v_mul_f32_e32 v37, 0x3fb8aa3b, v36
	v_cndmask_b32_e32 v29, 0, v19, vcc
	v_fmac_f32_e32 v29, 0x3fb8aa3b, v46
	v_cndmask_b32_e64 v35, 0, v19, s[2:3]
	v_exp_f32_e32 v29, v29
	v_fmac_f32_e32 v35, 0x3fb8aa3b, v34
	v_exp_f32_e32 v35, v35
	v_cndmask_b32_e32 v34, 0, v20, vcc
	v_ldexp_f32 v34, v29, v34
	v_cndmask_b32_e64 v29, 0, v20, s[2:3]
	v_ldexp_f32 v35, v35, v29
	v_mul_f32_e32 v29, 0x3fb8aa3b, v47
	v_cmp_gt_f32_e32 vcc, s29, v29
	v_cmp_gt_f32_e64 s[2:3], s29, v37
	.loc	1 40 56                         ; cross_entropy_loss_aot.py:40:56
	v_pk_fma_f32 v[6:7], v[6:7], v[32:33], v[40:41]
	.loc	1 40 35                         ; cross_entropy_loss_aot.py:40:35
	v_cndmask_b32_e32 v29, 0, v19, vcc
	v_fmac_f32_e32 v29, 0x3fb8aa3b, v47
	v_cndmask_b32_e64 v37, 0, v19, s[2:3]
	v_exp_f32_e32 v29, v29
	v_fmac_f32_e32 v37, 0x3fb8aa3b, v36
	v_exp_f32_e32 v37, v37
	v_cndmask_b32_e32 v36, 0, v20, vcc
	v_ldexp_f32 v36, v29, v36
	v_cndmask_b32_e64 v29, 0, v20, s[2:3]
	v_ldexp_f32 v37, v37, v29
	.loc	1 40 56                         ; cross_entropy_loss_aot.py:40:56
	v_pk_fma_f32 v[4:5], v[4:5], v[34:35], v[42:43]
	v_pk_fma_f32 v[2:3], v[2:3], v[36:37], v[44:45]
	.loc	1 33 27 is_stmt 1               ; cross_entropy_loss_aot.py:33:27
	s_cmp_lt_i32 s33, s13
	v_mov_b32_e32 v29, v21
	v_mov_b32_e32 v30, v22
	v_mov_b32_e32 v31, v23
	v_mov_b32_e32 v32, v24
	v_mov_b32_e32 v33, v25
	v_mov_b32_e32 v34, v26
	v_mov_b32_e32 v35, v27
	v_mov_b32_e32 v36, v28
	s_cbranch_scc0 .LBB0_23
.LBB0_7:                                ; %.lr.ph
                                        ; =>This Inner Loop Header: Depth=1
	.loc	1 34 25                         ; cross_entropy_loss_aot.py:34:25
	v_add_u32_e32 v21, s33, v10
	.loc	1 36 39                         ; cross_entropy_loss_aot.py:36:39
	v_cmp_gt_i32_e32 vcc, s13, v21
	.loc	1 37 32                         ; cross_entropy_loss_aot.py:37:32
	v_mov_b32_e32 v37, 0xff800000
	.loc	1 36 45                         ; cross_entropy_loss_aot.py:36:45
	s_and_b64 s[34:35], s[22:23], vcc
	v_mov_b32_e32 v38, v37
	.loc	1 37 32                         ; cross_entropy_loss_aot.py:37:32
	s_and_saveexec_b64 s[2:3], s[34:35]
	s_cbranch_execz .LBB0_9
; %bb.8:                                ;   in Loop: Header=BB0_7 Depth=1
	.loc	1 0 32 is_stmt 0                ; cross_entropy_loss_aot.py:0:32
	v_add_u32_e32 v22, s28, v11
	v_ashrrev_i32_e32 v23, 31, v22
	v_lshl_add_u64 v[22:23], v[22:23], 2, s[4:5]
	.loc	1 37 32                         ; cross_entropy_loss_aot.py:37:32
	global_load_dword v38, v[22:23], off
.LBB0_9:                                ;   in Loop: Header=BB0_7 Depth=1
	.loc	1 0 32                          ; cross_entropy_loss_aot.py:0:32
	s_or_b64 exec, exec, s[2:3]
	.loc	1 34 25 is_stmt 1               ; cross_entropy_loss_aot.py:34:25
	v_add_u32_e32 v22, 0x200, v21
	.loc	1 36 39                         ; cross_entropy_loss_aot.py:36:39
	v_cmp_gt_i32_e32 vcc, s13, v22
	.loc	1 36 45 is_stmt 0               ; cross_entropy_loss_aot.py:36:45
	s_and_b64 s[34:35], s[22:23], vcc
	.loc	1 37 32 is_stmt 1               ; cross_entropy_loss_aot.py:37:32
	s_and_saveexec_b64 s[2:3], s[34:35]
	s_cbranch_execz .LBB0_11
; %bb.10:                               ;   in Loop: Header=BB0_7 Depth=1
	.loc	1 35 65                         ; cross_entropy_loss_aot.py:35:65
	v_add_u32_e32 v22, s28, v18
	.loc	1 35 45 is_stmt 0               ; cross_entropy_loss_aot.py:35:45
	v_ashrrev_i32_e32 v23, 31, v22
	.loc	1 35 69                         ; cross_entropy_loss_aot.py:35:69
	v_lshl_add_u64 v[22:23], v[22:23], 2, s[4:5]
	.loc	1 37 32 is_stmt 1               ; cross_entropy_loss_aot.py:37:32
	global_load_dword v37, v[22:23], off
.LBB0_11:                               ;   in Loop: Header=BB0_7 Depth=1
	.loc	1 0 32 is_stmt 0                ; cross_entropy_loss_aot.py:0:32
	s_or_b64 exec, exec, s[2:3]
	.loc	1 34 25 is_stmt 1               ; cross_entropy_loss_aot.py:34:25
	v_add_u32_e32 v22, 0x400, v21
	.loc	1 36 39                         ; cross_entropy_loss_aot.py:36:39
	v_cmp_gt_i32_e32 vcc, s13, v22
	.loc	1 37 32                         ; cross_entropy_loss_aot.py:37:32
	v_mov_b32_e32 v39, 0xff800000
	.loc	1 36 45                         ; cross_entropy_loss_aot.py:36:45
	s_and_b64 s[34:35], s[22:23], vcc
	v_mov_b32_e32 v40, v39
	.loc	1 37 32                         ; cross_entropy_loss_aot.py:37:32
	s_and_saveexec_b64 s[2:3], s[34:35]
	s_cbranch_execz .LBB0_13
; %bb.12:                               ;   in Loop: Header=BB0_7 Depth=1
	.loc	1 35 65                         ; cross_entropy_loss_aot.py:35:65
	v_add_u32_e32 v22, s28, v17
	.loc	1 35 45 is_stmt 0               ; cross_entropy_loss_aot.py:35:45
	v_ashrrev_i32_e32 v23, 31, v22
	.loc	1 35 69                         ; cross_entropy_loss_aot.py:35:69
	v_lshl_add_u64 v[22:23], v[22:23], 2, s[4:5]
	.loc	1 37 32 is_stmt 1               ; cross_entropy_loss_aot.py:37:32
	global_load_dword v40, v[22:23], off
.LBB0_13:                               ;   in Loop: Header=BB0_7 Depth=1
	.loc	1 0 32 is_stmt 0                ; cross_entropy_loss_aot.py:0:32
	s_or_b64 exec, exec, s[2:3]
	.loc	1 34 25 is_stmt 1               ; cross_entropy_loss_aot.py:34:25
	v_add_u32_e32 v22, 0x600, v21
	.loc	1 36 39                         ; cross_entropy_loss_aot.py:36:39
	v_cmp_gt_i32_e32 vcc, s13, v22
	.loc	1 36 45 is_stmt 0               ; cross_entropy_loss_aot.py:36:45
	s_and_b64 s[34:35], s[22:23], vcc
	.loc	1 37 32 is_stmt 1               ; cross_entropy_loss_aot.py:37:32
	s_and_saveexec_b64 s[2:3], s[34:35]
	s_cbranch_execz .LBB0_15
; %bb.14:                               ;   in Loop: Header=BB0_7 Depth=1
	.loc	1 35 65                         ; cross_entropy_loss_aot.py:35:65
	v_add_u32_e32 v22, s28, v16
	.loc	1 35 45 is_stmt 0               ; cross_entropy_loss_aot.py:35:45
	v_ashrrev_i32_e32 v23, 31, v22
	.loc	1 35 69                         ; cross_entropy_loss_aot.py:35:69
	v_lshl_add_u64 v[22:23], v[22:23], 2, s[4:5]
	.loc	1 37 32 is_stmt 1               ; cross_entropy_loss_aot.py:37:32
	global_load_dword v39, v[22:23], off
.LBB0_15:                               ;   in Loop: Header=BB0_7 Depth=1
	.loc	1 0 32 is_stmt 0                ; cross_entropy_loss_aot.py:0:32
	s_or_b64 exec, exec, s[2:3]
	.loc	1 34 25 is_stmt 1               ; cross_entropy_loss_aot.py:34:25
	v_add_u32_e32 v22, 0x800, v21
	.loc	1 36 39                         ; cross_entropy_loss_aot.py:36:39
	v_cmp_gt_i32_e32 vcc, s13, v22
	.loc	1 37 32                         ; cross_entropy_loss_aot.py:37:32
	v_mov_b32_e32 v41, 0xff800000
	.loc	1 36 45                         ; cross_entropy_loss_aot.py:36:45
	s_and_b64 s[34:35], s[22:23], vcc
	v_mov_b32_e32 v42, v41
	.loc	1 37 32                         ; cross_entropy_loss_aot.py:37:32
	s_and_saveexec_b64 s[2:3], s[34:35]
	s_cbranch_execz .LBB0_17
; %bb.16:                               ;   in Loop: Header=BB0_7 Depth=1
	.loc	1 35 65                         ; cross_entropy_loss_aot.py:35:65
	v_add_u32_e32 v22, s28, v15
	.loc	1 35 45 is_stmt 0               ; cross_entropy_loss_aot.py:35:45
	v_ashrrev_i32_e32 v23, 31, v22
	.loc	1 35 69                         ; cross_entropy_loss_aot.py:35:69
	v_lshl_add_u64 v[22:23], v[22:23], 2, s[4:5]
	.loc	1 37 32 is_stmt 1               ; cross_entropy_loss_aot.py:37:32
	global_load_dword v42, v[22:23], off
.LBB0_17:                               ;   in Loop: Header=BB0_7 Depth=1
	.loc	1 0 32 is_stmt 0                ; cross_entropy_loss_aot.py:0:32
	;; [unrolled: 45-line block ×3, first 2 shown]
	s_or_b64 exec, exec, s[2:3]
	.loc	1 35 65 is_stmt 1               ; cross_entropy_loss_aot.py:35:65
	v_add_u32_e32 v21, 0xe00, v21
	.loc	1 36 39                         ; cross_entropy_loss_aot.py:36:39
	v_cmp_gt_i32_e32 vcc, s13, v21
	.loc	1 36 45 is_stmt 0               ; cross_entropy_loss_aot.py:36:45
	s_and_b64 s[34:35], s[22:23], vcc
	.loc	1 37 32 is_stmt 1               ; cross_entropy_loss_aot.py:37:32
	s_and_saveexec_b64 s[2:3], s[34:35]
	s_cbranch_execz .LBB0_6
; %bb.22:                               ;   in Loop: Header=BB0_7 Depth=1
	.loc	1 35 45                         ; cross_entropy_loss_aot.py:35:45
	v_add_u32_e32 v22, s28, v12
	v_ashrrev_i32_e32 v23, 31, v22
	.loc	1 35 69 is_stmt 0               ; cross_entropy_loss_aot.py:35:69
	v_lshl_add_u64 v[22:23], v[22:23], 2, s[4:5]
	.loc	1 37 32 is_stmt 1               ; cross_entropy_loss_aot.py:37:32
	global_load_dword v43, v[22:23], off
	s_branch .LBB0_6
.LBB0_23:                               ; %._crit_edge
.Ltmp2:
	.file	2 "/root/.local/lib/python3.13/site-packages/triton/language" "standard.py"
	.loc	2 170 27                        ; standard.py:170:27 @[ standard.py:191:40 @[ cross_entropy_loss_aot.py:42:23 ] ]
	v_max_f32_e32 v10, v22, v22
	v_max_f32_e32 v11, v21, v21
	;; [unrolled: 1-line block ×3, first 2 shown]
	v_max3_f32 v10, v10, v23, v24
	v_max3_f32 v10, v10, v25, v26
	;; [unrolled: 1-line block ×3, first 2 shown]
.Ltmp3:
	.loc	2 191 40                        ; standard.py:191:40 @[ cross_entropy_loss_aot.py:42:23 ]
	s_lshr_b32 s2, s17, 4
	s_and_b32 s2, s2, 28
	v_mov_b32_dpp v11, v10 row_shr:8 row_mask:0xf bank_mask:0xf bound_ctrl:1
.Ltmp4:
	.loc	2 170 27                        ; standard.py:170:27 @[ standard.py:191:40 @[ cross_entropy_loss_aot.py:42:23 ] ]
	v_max_f32_e32 v11, v11, v11
	v_max_f32_e32 v10, v10, v11
.Ltmp5:
	.loc	2 191 40                        ; standard.py:191:40 @[ cross_entropy_loss_aot.py:42:23 ]
	v_cmp_eq_u32_e32 vcc, 0, v1
	s_add_i32 s13, s2, 0
	v_mov_b32_dpp v11, v10 row_shr:4 row_mask:0xf bank_mask:0xf bound_ctrl:1
.Ltmp6:
	.loc	2 170 27                        ; standard.py:170:27 @[ standard.py:191:40 @[ cross_entropy_loss_aot.py:42:23 ] ]
	v_max_f32_e32 v11, v11, v11
	v_max_f32_e32 v10, v10, v11
.Ltmp7:
	.loc	2 191 40                        ; standard.py:191:40 @[ cross_entropy_loss_aot.py:42:23 ]
	s_nop 1
	v_mov_b32_dpp v11, v10 row_shr:2 row_mask:0xf bank_mask:0xf bound_ctrl:1
.Ltmp8:
	.loc	2 170 27                        ; standard.py:170:27 @[ standard.py:191:40 @[ cross_entropy_loss_aot.py:42:23 ] ]
	v_max_f32_e32 v11, v11, v11
	v_max_f32_e32 v10, v10, v11
.Ltmp9:
	.loc	2 191 40                        ; standard.py:191:40 @[ cross_entropy_loss_aot.py:42:23 ]
	s_nop 1
	v_mov_b32_dpp v11, v10 row_shr:1 row_mask:0xf bank_mask:0xf bound_ctrl:1
.Ltmp10:
	.loc	2 170 27                        ; standard.py:170:27 @[ standard.py:191:40 @[ cross_entropy_loss_aot.py:42:23 ] ]
	v_max_f32_e32 v11, v11, v11
	v_max_f32_e32 v10, v10, v11
.Ltmp11:
	.loc	2 191 40                        ; standard.py:191:40 @[ cross_entropy_loss_aot.py:42:23 ]
	v_mov_b32_e32 v11, v10
	s_nop 1
	v_mov_b32_dpp v11, v11 row_bcast:15 row_mask:0xa bank_mask:0xf bound_ctrl:1
.Ltmp12:
	.loc	2 170 27                        ; standard.py:170:27 @[ standard.py:191:40 @[ cross_entropy_loss_aot.py:42:23 ] ]
	v_max_f32_e32 v11, v11, v11
	v_max_f32_e32 v10, v10, v11
.Ltmp13:
	.loc	2 191 40                        ; standard.py:191:40 @[ cross_entropy_loss_aot.py:42:23 ]
	s_nop 1
	v_mov_b32_dpp v11, v10 row_bcast:31 row_mask:0xf bank_mask:0xf bound_ctrl:1
.Ltmp14:
	.loc	2 170 27                        ; standard.py:170:27 @[ standard.py:191:40 @[ cross_entropy_loss_aot.py:42:23 ] ]
	v_max_f32_e32 v11, v11, v11
	v_max_f32_e32 v10, v10, v11
.Ltmp15:
	.loc	2 191 40                        ; standard.py:191:40 @[ cross_entropy_loss_aot.py:42:23 ]
	s_nop 0
	v_readlane_b32 s4, v10, 63
	s_and_saveexec_b64 s[2:3], vcc
; %bb.24:
	v_mov_b32_e32 v10, s13
	v_mov_b32_e32 v11, s4
	ds_write_b32 v10, v11
; %bb.25:
	.loc	2 0 40 is_stmt 0                ; standard.py:0:40
	s_or_b64 exec, exec, s[2:3]
	.loc	2 191 40                        ; standard.py:191:40 @[ cross_entropy_loss_aot.py:42:23 ]
	v_cmp_gt_u32_e64 s[2:3], 8, v0
	v_lshl_add_u32 v10, v0, 2, 0
.Ltmp16:
	.loc	1 42 23 is_stmt 1               ; cross_entropy_loss_aot.py:42:23
	v_mov_b32_e32 v11, 0
.Ltmp17:
	.loc	2 191 40                        ; standard.py:191:40 @[ cross_entropy_loss_aot.py:42:23 ]
	s_waitcnt lgkmcnt(0)
	s_barrier
	s_and_saveexec_b64 s[4:5], s[2:3]
; %bb.26:
	ds_read_b32 v11, v10
; %bb.27:
	.loc	2 0 40 is_stmt 0                ; standard.py:0:40
	s_or_b64 exec, exec, s[4:5]
	.loc	2 191 40                        ; standard.py:191:40 @[ cross_entropy_loss_aot.py:42:23 ]
	s_waitcnt lgkmcnt(0)
	v_mov_b32_e32 v12, v11
	v_and_b32_e32 v0, 7, v0
	v_cmp_eq_u32_e64 s[4:5], 0, v0
	v_mov_b32_dpp v12, v12 row_shr:4 row_mask:0xf bank_mask:0xa
	s_and_b64 s[28:29], s[2:3], s[4:5]
	s_nop 0
	v_mov_b32_dpp v12, v11 row_shl:4 row_mask:0xf bank_mask:0x5
.Ltmp18:
	.loc	2 170 27 is_stmt 1              ; standard.py:170:27 @[ standard.py:191:40 @[ cross_entropy_loss_aot.py:42:23 ] ]
	v_max_f32_e32 v12, v12, v12
	v_max_f32_e32 v11, v11, v11
	;; [unrolled: 1-line block ×3, first 2 shown]
.Ltmp19:
	.loc	2 191 40                        ; standard.py:191:40 @[ cross_entropy_loss_aot.py:42:23 ]
	v_mov_b32_e32 v12, v11
	s_nop 1
	v_mov_b32_dpp v12, v12 quad_perm:[2,3,0,1] row_mask:0xf bank_mask:0xf
.Ltmp20:
	.loc	2 170 27                        ; standard.py:170:27 @[ standard.py:191:40 @[ cross_entropy_loss_aot.py:42:23 ] ]
	v_max_f32_e32 v12, v12, v12
	v_max_f32_e32 v11, v11, v12
.Ltmp21:
	.loc	2 191 40                        ; standard.py:191:40 @[ cross_entropy_loss_aot.py:42:23 ]
	v_mov_b32_e32 v12, v11
	s_nop 1
	v_mov_b32_dpp v12, v12 quad_perm:[1,0,3,2] row_mask:0xf bank_mask:0xf
	s_and_saveexec_b64 s[4:5], s[28:29]
; %bb.28:
	.loc	2 0 40 is_stmt 0                ; standard.py:0:40
	v_max_f32_e32 v0, v12, v12
	v_max_f32_e32 v11, v11, v11
	v_max_f32_e32 v0, v11, v0
	.loc	2 191 40                        ; standard.py:191:40 @[ cross_entropy_loss_aot.py:42:23 ]
	ds_write_b32 v10, v0
; %bb.29:
	.loc	2 0 40                          ; standard.py:0:40
	s_or_b64 exec, exec, s[4:5]
	.loc	2 191 40                        ; standard.py:191:40 @[ cross_entropy_loss_aot.py:42:23 ]
	v_mov_b32_e32 v0, 0
	s_waitcnt lgkmcnt(0)
	s_barrier
	ds_read_b32 v0, v0
	s_mov_b32 s33, 0xc2fc0000
.Ltmp22:
	.loc	1 43 31 is_stmt 1               ; cross_entropy_loss_aot.py:43:31
	v_mov_b32_e32 v20, 0x42800000
.Ltmp23:
	.loc	2 293 36                        ; standard.py:293:36 @[ cross_entropy_loss_aot.py:44:30 ]
	s_waitcnt lgkmcnt(0)
	s_barrier
.Ltmp24:
	.loc	1 43 41                         ; cross_entropy_loss_aot.py:43:41
	v_sub_f32_e32 v11, v21, v0
	v_sub_f32_e32 v12, v22, v0
	.loc	1 43 31 is_stmt 0               ; cross_entropy_loss_aot.py:43:31
	v_mul_f32_e32 v19, 0x3fb8aa3b, v11
	v_cmp_gt_f32_e64 s[4:5], s33, v19
	v_mul_f32_e32 v21, 0x3fb8aa3b, v12
	v_cmp_gt_f32_e64 s[16:17], s33, v21
	v_cndmask_b32_e64 v19, 0, v20, s[4:5]
	v_fmac_f32_e32 v19, 0x3fb8aa3b, v11
	v_cndmask_b32_e64 v21, 0, v20, s[16:17]
	v_exp_f32_e32 v11, v19
	v_fmac_f32_e32 v21, 0x3fb8aa3b, v12
	v_exp_f32_e32 v12, v21
	v_not_b32_e32 v19, 63
	v_cndmask_b32_e64 v21, 0, v19, s[4:5]
	.loc	1 43 41                         ; cross_entropy_loss_aot.py:43:41
	v_sub_f32_e32 v13, v23, v0
	.loc	1 43 31                         ; cross_entropy_loss_aot.py:43:31
	v_ldexp_f32 v11, v11, v21
	v_cndmask_b32_e64 v21, 0, v19, s[16:17]
	v_ldexp_f32 v12, v12, v21
	v_mul_f32_e32 v21, 0x3fb8aa3b, v13
	v_cmp_gt_f32_e64 s[4:5], s33, v21
	.loc	1 43 41                         ; cross_entropy_loss_aot.py:43:41
	v_sub_f32_e32 v14, v24, v0
	v_sub_f32_e32 v15, v25, v0
	.loc	1 43 31                         ; cross_entropy_loss_aot.py:43:31
	v_cndmask_b32_e64 v21, 0, v20, s[4:5]
	v_fmac_f32_e32 v21, 0x3fb8aa3b, v13
	v_exp_f32_e32 v13, v21
	v_mul_f32_e32 v21, 0x3fb8aa3b, v14
	v_cmp_gt_f32_e64 s[16:17], s33, v21
	.loc	1 43 41                         ; cross_entropy_loss_aot.py:43:41
	v_sub_f32_e32 v16, v26, v0
	v_sub_f32_e32 v17, v27, v0
	.loc	1 43 31                         ; cross_entropy_loss_aot.py:43:31
	v_cndmask_b32_e64 v21, 0, v20, s[16:17]
	v_fmac_f32_e32 v21, 0x3fb8aa3b, v14
	v_exp_f32_e32 v14, v21
	v_cndmask_b32_e64 v21, 0, v19, s[4:5]
	v_ldexp_f32 v13, v13, v21
	v_cndmask_b32_e64 v21, 0, v19, s[16:17]
	v_ldexp_f32 v14, v14, v21
	v_mul_f32_e32 v21, 0x3fb8aa3b, v15
	v_cmp_gt_f32_e64 s[4:5], s33, v21
	.loc	1 43 41                         ; cross_entropy_loss_aot.py:43:41
	v_sub_f32_e32 v18, v28, v0
	.loc	1 43 24                         ; cross_entropy_loss_aot.py:43:24
	v_mul_f32_e32 v9, v9, v12
	.loc	1 43 31                         ; cross_entropy_loss_aot.py:43:31
	v_cndmask_b32_e64 v21, 0, v20, s[4:5]
	v_fmac_f32_e32 v21, 0x3fb8aa3b, v15
	v_exp_f32_e32 v15, v21
	v_mul_f32_e32 v21, 0x3fb8aa3b, v16
	v_cmp_gt_f32_e64 s[16:17], s33, v21
.Ltmp25:
	.loc	2 263 15 is_stmt 1              ; standard.py:263:15 @[ standard.py:293:36 @[ cross_entropy_loss_aot.py:44:30 ] ]
	v_fmac_f32_e32 v9, v8, v11
	v_fmac_f32_e32 v9, v6, v13
.Ltmp26:
	.loc	1 43 31                         ; cross_entropy_loss_aot.py:43:31
	v_cndmask_b32_e64 v21, 0, v20, s[16:17]
	v_fmac_f32_e32 v21, 0x3fb8aa3b, v16
	v_exp_f32_e32 v16, v21
	v_cndmask_b32_e64 v21, 0, v19, s[4:5]
	v_ldexp_f32 v15, v15, v21
	v_cndmask_b32_e64 v21, 0, v19, s[16:17]
	v_ldexp_f32 v16, v16, v21
	v_mul_f32_e32 v21, 0x3fb8aa3b, v17
	v_cmp_gt_f32_e64 s[4:5], s33, v21
.Ltmp27:
	.loc	2 263 15                        ; standard.py:263:15 @[ standard.py:293:36 @[ cross_entropy_loss_aot.py:44:30 ] ]
	v_fmac_f32_e32 v9, v7, v14
	v_fmac_f32_e32 v9, v4, v15
.Ltmp28:
	.loc	1 43 31                         ; cross_entropy_loss_aot.py:43:31
	v_cndmask_b32_e64 v21, 0, v20, s[4:5]
	v_fmac_f32_e32 v21, 0x3fb8aa3b, v17
	v_exp_f32_e32 v17, v21
	v_mul_f32_e32 v21, 0x3fb8aa3b, v18
	v_cmp_gt_f32_e64 s[16:17], s33, v21
.Ltmp29:
	.loc	2 263 15                        ; standard.py:263:15 @[ standard.py:293:36 @[ cross_entropy_loss_aot.py:44:30 ] ]
	v_fmac_f32_e32 v9, v5, v16
.Ltmp30:
	.loc	1 43 31                         ; cross_entropy_loss_aot.py:43:31
	s_nop 0
	v_cndmask_b32_e64 v20, 0, v20, s[16:17]
	v_fmac_f32_e32 v20, 0x3fb8aa3b, v18
	v_exp_f32_e32 v18, v20
	v_cndmask_b32_e64 v20, 0, v19, s[4:5]
	v_ldexp_f32 v17, v17, v20
	v_cndmask_b32_e64 v19, 0, v19, s[16:17]
	v_ldexp_f32 v18, v18, v19
.Ltmp31:
	.loc	2 263 15                        ; standard.py:263:15 @[ standard.py:293:36 @[ cross_entropy_loss_aot.py:44:30 ] ]
	v_fmac_f32_e32 v9, v2, v17
	v_fmac_f32_e32 v9, v3, v18
	s_nop 1
	v_add_f32_dpp v2, v9, v9 row_shr:8 row_mask:0xf bank_mask:0xf bound_ctrl:1
	s_nop 1
	v_add_f32_dpp v2, v2, v2 row_shr:4 row_mask:0xf bank_mask:0xf bound_ctrl:1
	;; [unrolled: 2-line block ×4, first 2 shown]
.Ltmp32:
	.loc	2 293 36                        ; standard.py:293:36 @[ cross_entropy_loss_aot.py:44:30 ]
	v_mov_b32_e32 v3, v2
	s_nop 1
	v_mov_b32_dpp v3, v3 row_bcast:15 row_mask:0xa bank_mask:0xf bound_ctrl:1
.Ltmp33:
	.loc	2 263 15                        ; standard.py:263:15 @[ standard.py:293:36 @[ cross_entropy_loss_aot.py:44:30 ] ]
	v_add_f32_e32 v2, v3, v2
	s_nop 1
	v_add_f32_dpp v2, v2, v2 row_bcast:31 row_mask:0xf bank_mask:0xf bound_ctrl:1
.Ltmp34:
	.loc	2 293 36                        ; standard.py:293:36 @[ cross_entropy_loss_aot.py:44:30 ]
	s_nop 0
	v_readlane_b32 s16, v2, 63
	s_and_saveexec_b64 s[4:5], vcc
; %bb.30:
	v_mov_b32_e32 v2, s13
	v_mov_b32_e32 v3, s16
	ds_write_b32 v2, v3
.Ltmp35:
; %bb.31:
	.loc	2 0 36 is_stmt 0                ; standard.py:0:36
	s_or_b64 exec, exec, s[4:5]
	.loc	1 44 30 is_stmt 1               ; cross_entropy_loss_aot.py:44:30
	v_mov_b32_e32 v2, 0
.Ltmp36:
	.loc	2 293 36                        ; standard.py:293:36 @[ cross_entropy_loss_aot.py:44:30 ]
	s_waitcnt lgkmcnt(0)
	s_barrier
	s_and_saveexec_b64 s[4:5], s[2:3]
; %bb.32:
	ds_read_b32 v2, v10
; %bb.33:
	.loc	2 0 36 is_stmt 0                ; standard.py:0:36
	s_or_b64 exec, exec, s[4:5]
	.loc	2 293 36                        ; standard.py:293:36 @[ cross_entropy_loss_aot.py:44:30 ]
	s_waitcnt lgkmcnt(0)
	v_mov_b32_e32 v3, v2
	s_nop 1
	v_mov_b32_dpp v3, v3 row_shr:4 row_mask:0xf bank_mask:0xa
	s_nop 1
	v_mov_b32_dpp v3, v2 row_shl:4 row_mask:0xf bank_mask:0x5
.Ltmp37:
	.loc	2 263 15 is_stmt 1              ; standard.py:263:15 @[ standard.py:293:36 @[ cross_entropy_loss_aot.py:44:30 ] ]
	v_add_f32_e32 v2, v2, v3
.Ltmp38:
	.loc	2 293 36                        ; standard.py:293:36 @[ cross_entropy_loss_aot.py:44:30 ]
	v_mov_b32_e32 v3, v2
	s_nop 1
	v_mov_b32_dpp v3, v3 quad_perm:[2,3,0,1] row_mask:0xf bank_mask:0xf
.Ltmp39:
	.loc	2 263 15                        ; standard.py:263:15 @[ standard.py:293:36 @[ cross_entropy_loss_aot.py:44:30 ] ]
	v_add_f32_e32 v2, v2, v3
.Ltmp40:
	.loc	2 293 36                        ; standard.py:293:36 @[ cross_entropy_loss_aot.py:44:30 ]
	v_mov_b32_e32 v3, v2
	s_nop 1
	v_mov_b32_dpp v3, v3 quad_perm:[1,0,3,2] row_mask:0xf bank_mask:0xf
	s_and_saveexec_b64 s[2:3], s[28:29]
; %bb.34:
	.loc	2 0 36 is_stmt 0                ; standard.py:0:36
	v_add_f32_e32 v2, v2, v3
	.loc	2 293 36                        ; standard.py:293:36 @[ cross_entropy_loss_aot.py:44:30 ]
	ds_write_b32 v10, v2
; %bb.35:
	.loc	2 0 36                          ; standard.py:0:36
	s_or_b64 exec, exec, s[2:3]
	.loc	2 293 36                        ; standard.py:293:36 @[ cross_entropy_loss_aot.py:44:30 ]
	v_mov_b32_e32 v2, 0
	s_waitcnt lgkmcnt(0)
	s_barrier
	ds_read_b32 v3, v2
.Ltmp41:
	.loc	1 47 22 is_stmt 1               ; cross_entropy_loss_aot.py:47:22
	s_and_b64 vcc, exec, s[0:1]
	v_mov_b32_e32 v4, 0xff800000
	s_cbranch_vccnz .LBB0_37
; %bb.36:
	.loc	1 46 51                         ; cross_entropy_loss_aot.py:46:51
	s_ashr_i32 s0, s14, 31
	s_mul_hi_u32 s1, s26, s14
	s_mul_i32 s0, s26, s0
	s_add_i32 s0, s1, s0
	s_mul_i32 s1, s27, s14
	s_add_i32 s1, s0, s1
	s_mul_i32 s0, s26, s14
	.loc	1 46 45 is_stmt 0               ; cross_entropy_loss_aot.py:46:45
	s_lshl_b64 s[0:1], s[0:1], 2
	s_add_u32 s2, s30, s0
	s_addc_u32 s3, s31, s1
	.loc	1 46 55                         ; cross_entropy_loss_aot.py:46:55
	s_lshl_b64 s[0:1], s[18:19], 2
	s_add_u32 s0, s2, s0
	s_addc_u32 s1, s3, s1
	v_mov_b32_e32 v4, 0
	.loc	1 47 22 is_stmt 1               ; cross_entropy_loss_aot.py:47:22
	global_load_dword v4, v4, s[0:1]
.LBB0_37:
	.loc	1 28 30                         ; cross_entropy_loss_aot.py:28:30
	s_ashr_i32 s13, s12, 31
	s_cmp_eq_u64 s[26:27], s[12:13]
	s_cselect_b64 s[2:3], -1, 0
	.loc	1 28 48 is_stmt 0               ; cross_entropy_loss_aot.py:28:48
	s_xor_b64 s[0:1], s[22:23], -1
	.loc	1 55 24 is_stmt 1               ; cross_entropy_loss_aot.py:55:24
	s_or_b64 s[2:3], s[0:1], s[2:3]
	s_and_b64 vcc, exec, s[2:3]
	v_mov_b32_e32 v5, 0
	s_cbranch_vccnz .LBB0_39
; %bb.38:
	.loc	1 0 24 is_stmt 0                ; cross_entropy_loss_aot.py:0:24
	s_lshl_b64 s[2:3], s[26:27], 2
	s_add_u32 s2, s6, s2
	s_addc_u32 s3, s7, s3
	v_mov_b32_e32 v5, 0
	.loc	1 55 24                         ; cross_entropy_loss_aot.py:55:24
	global_load_dword v5, v5, s[2:3]
.LBB0_39:
	.loc	1 28 30 is_stmt 1               ; cross_entropy_loss_aot.py:28:30
	s_cmp_eq_u64 s[24:25], s[12:13]
	s_cselect_b64 s[2:3], -1, 0
	.loc	1 55 24                         ; cross_entropy_loss_aot.py:55:24
	s_or_b64 s[0:1], s[0:1], s[2:3]
	s_and_b64 vcc, exec, s[0:1]
	s_cbranch_vccnz .LBB0_41
; %bb.40:
	.loc	1 55 32 is_stmt 0               ; cross_entropy_loss_aot.py:55:32
	s_lshl_b64 s[0:1], s[24:25], 2
	s_add_u32 s0, s6, s0
	s_addc_u32 s1, s7, s1
	v_mov_b32_e32 v2, 0
	.loc	1 55 24                         ; cross_entropy_loss_aot.py:55:24
	global_load_dword v2, v2, s[0:1]
.LBB0_41:
	.loc	1 34 38 is_stmt 1               ; cross_entropy_loss_aot.py:34:38
	v_or_b32_e32 v1, s15, v1
	.loc	1 57 25                         ; cross_entropy_loss_aot.py:57:25
	v_cmp_eq_u32_e32 vcc, 0, v1
	s_and_b64 s[0:1], s[22:23], vcc
	s_and_saveexec_b64 s[2:3], s[0:1]
	s_cbranch_execz .LBB0_43
; %bb.42:
	.loc	1 0 25 is_stmt 0                ; cross_entropy_loss_aot.py:0:25
	s_mov_b32 s0, 0x800000
	.loc	1 44 23 is_stmt 1               ; cross_entropy_loss_aot.py:44:23
	s_waitcnt lgkmcnt(0)
	v_cmp_gt_f32_e32 vcc, s0, v3
	s_and_b64 s[0:1], vcc, exec
	s_cselect_b32 s0, 32, 0
	v_ldexp_f32 v3, v3, s0
	v_log_f32_e32 v3, v3
	s_mov_b32 s0, 0x3f317217
	v_mov_b32_e32 v1, 0x41b17218
	v_cndmask_b32_e32 v1, 0, v1, vcc
	v_mul_f32_e32 v6, 0x3f317217, v3
	v_fma_f32 v6, v3, s0, -v6
	s_mov_b32 s0, 0x7f800000
	v_cmp_lt_f32_e64 vcc, |v3|, s0
	.loc	1 50 29                         ; cross_entropy_loss_aot.py:50:29
	s_lshl_b64 s[0:1], s[20:21], 2
	s_add_u32 s4, s10, s0
	.loc	1 44 23                         ; cross_entropy_loss_aot.py:44:23
	v_fmamk_f32 v6, v3, 0x3377d1cf, v6
	.loc	1 50 29                         ; cross_entropy_loss_aot.py:50:29
	s_addc_u32 s5, s11, s1
	.loc	1 50 41 is_stmt 0               ; cross_entropy_loss_aot.py:50:41
	s_lshl_b64 s[2:3], s[18:19], 2
	.loc	1 44 23 is_stmt 1               ; cross_entropy_loss_aot.py:44:23
	v_fmac_f32_e32 v6, 0x3f317217, v3
	.loc	1 50 41                         ; cross_entropy_loss_aot.py:50:41
	s_add_u32 s4, s4, s2
	.loc	1 44 23                         ; cross_entropy_loss_aot.py:44:23
	v_cndmask_b32_e32 v3, v3, v6, vcc
	.loc	1 50 41                         ; cross_entropy_loss_aot.py:50:41
	s_addc_u32 s5, s5, s3
	.loc	1 44 23                         ; cross_entropy_loss_aot.py:44:23
	v_sub_f32_e32 v1, v3, v1
	s_add_u32 s0, s8, s0
	.loc	1 49 22                         ; cross_entropy_loss_aot.py:49:22
	v_add_f32_e32 v0, v0, v1
	s_addc_u32 s1, s9, s1
	.loc	1 49 34 is_stmt 0               ; cross_entropy_loss_aot.py:49:34
	s_waitcnt vmcnt(0)
	v_sub_f32_e32 v0, v0, v4
	.loc	1 50 41 is_stmt 1               ; cross_entropy_loss_aot.py:50:41
	v_mov_b32_e32 v1, 0
	s_add_u32 s0, s0, s2
	s_addc_u32 s1, s1, s3
	v_mul_f32_e32 v0, v0, v5
	.loc	1 57 25                         ; cross_entropy_loss_aot.py:57:25
	global_store_dword v1, v2, s[4:5]
	.loc	1 60 23                         ; cross_entropy_loss_aot.py:60:23
	global_store_dword v1, v0, s[0:1]
.LBB0_43:                               ; %.critedge
	.loc	1 60 4                          ; cross_entropy_loss_aot.py:60:4
	s_endpgm
.Ltmp42:
	.section	.rodata,"a",@progbits
	.p2align	6, 0x0
	.amdhsa_kernel celoss_indices_kernel
		.amdhsa_group_segment_fixed_size 0
		.amdhsa_private_segment_fixed_size 0
		.amdhsa_kernarg_size 72
		.amdhsa_user_sgpr_count 15
		.amdhsa_user_sgpr_dispatch_ptr 0
		.amdhsa_user_sgpr_queue_ptr 0
		.amdhsa_user_sgpr_kernarg_segment_ptr 1
		.amdhsa_user_sgpr_dispatch_id 0
		.amdhsa_user_sgpr_kernarg_preload_length 13
		.amdhsa_user_sgpr_kernarg_preload_offset 0
		.amdhsa_user_sgpr_private_segment_size 0
		.amdhsa_uses_dynamic_stack 0
		.amdhsa_enable_private_segment 0
		.amdhsa_system_sgpr_workgroup_id_x 1
		.amdhsa_system_sgpr_workgroup_id_y 1
		.amdhsa_system_sgpr_workgroup_id_z 0
		.amdhsa_system_sgpr_workgroup_info 0
		.amdhsa_system_vgpr_workitem_id 0
		.amdhsa_next_free_vgpr 48
		.amdhsa_next_free_sgpr 36
		.amdhsa_accum_offset 48
		.amdhsa_reserve_vcc 1
		.amdhsa_reserve_xnack_mask 1
		.amdhsa_float_round_mode_32 0
		.amdhsa_float_round_mode_16_64 0
		.amdhsa_float_denorm_mode_32 3
		.amdhsa_float_denorm_mode_16_64 3
		.amdhsa_dx10_clamp 1
		.amdhsa_ieee_mode 1
		.amdhsa_fp16_overflow 0
		.amdhsa_tg_split 0
		.amdhsa_exception_fp_ieee_invalid_op 0
		.amdhsa_exception_fp_denorm_src 0
		.amdhsa_exception_fp_ieee_div_zero 0
		.amdhsa_exception_fp_ieee_overflow 0
		.amdhsa_exception_fp_ieee_underflow 0
		.amdhsa_exception_fp_ieee_inexact 0
		.amdhsa_exception_int_div_zero 0
	.end_amdhsa_kernel
	.text
.Lfunc_end0:
	.size	celoss_indices_kernel, .Lfunc_end0-celoss_indices_kernel
	.cfi_endproc
                                        ; -- End function
	.set celoss_indices_kernel.num_vgpr, 48
	.set celoss_indices_kernel.num_agpr, 0
	.set celoss_indices_kernel.numbered_sgpr, 36
	.set celoss_indices_kernel.num_named_barrier, 0
	.set celoss_indices_kernel.private_seg_size, 0
	.set celoss_indices_kernel.uses_vcc, 1
	.set celoss_indices_kernel.uses_flat_scratch, 0
	.set celoss_indices_kernel.has_dyn_sized_stack, 0
	.set celoss_indices_kernel.has_recursion, 0
	.set celoss_indices_kernel.has_indirect_call, 0
	.section	.AMDGPU.csdata,"",@progbits
; Kernel info:
; codeLenInByte = 3700
; TotalNumSgprs: 42
; NumVgprs: 48
; NumAgprs: 0
; TotalNumVgprs: 48
; ScratchSize: 0
; MemoryBound: 0
; FloatMode: 240
; IeeeMode: 1
; LDSByteSize: 0 bytes/workgroup (compile time only)
; SGPRBlocks: 5
; VGPRBlocks: 5
; NumSGPRsForWavesPerEU: 42
; NumVGPRsForWavesPerEU: 48
; AccumOffset: 48
; Occupancy: 8
; WaveLimiterHint : 0
; COMPUTE_PGM_RSRC2:SCRATCH_EN: 0
; COMPUTE_PGM_RSRC2:USER_SGPR: 15
; COMPUTE_PGM_RSRC2:TRAP_HANDLER: 0
; COMPUTE_PGM_RSRC2:TGID_X_EN: 1
; COMPUTE_PGM_RSRC2:TGID_Y_EN: 1
; COMPUTE_PGM_RSRC2:TGID_Z_EN: 0
; COMPUTE_PGM_RSRC2:TIDIG_COMP_CNT: 0
; COMPUTE_PGM_RSRC3_GFX90A:ACCUM_OFFSET: 11
; COMPUTE_PGM_RSRC3_GFX90A:TG_SPLIT: 0
	.text
	.p2alignl 6, 3212836864
	.fill 256, 4, 3212836864
	.section	.AMDGPU.gpr_maximums,"",@progbits
	.set amdgpu.max_num_vgpr, 0
	.set amdgpu.max_num_agpr, 0
	.set amdgpu.max_num_sgpr, 0
	.set amdgpu.max_num_named_barrier, 0
	.text
	.section	.debug_abbrev,"",@progbits
	.byte	1                               ; Abbreviation Code
	.byte	17                              ; DW_TAG_compile_unit
	.byte	1                               ; DW_CHILDREN_yes
	.byte	37                              ; DW_AT_producer
	.byte	14                              ; DW_FORM_strp
	.byte	19                              ; DW_AT_language
	.byte	5                               ; DW_FORM_data2
	.byte	3                               ; DW_AT_name
	.byte	14                              ; DW_FORM_strp
	.byte	16                              ; DW_AT_stmt_list
	.byte	23                              ; DW_FORM_sec_offset
	.byte	27                              ; DW_AT_comp_dir
	.byte	14                              ; DW_FORM_strp
	.byte	17                              ; DW_AT_low_pc
	.byte	1                               ; DW_FORM_addr
	.byte	18                              ; DW_AT_high_pc
	.byte	6                               ; DW_FORM_data4
	.byte	0                               ; EOM(1)
	.byte	0                               ; EOM(2)
	.byte	2                               ; Abbreviation Code
	.byte	46                              ; DW_TAG_subprogram
	.byte	0                               ; DW_CHILDREN_no
	.byte	3                               ; DW_AT_name
	.byte	14                              ; DW_FORM_strp
	.byte	32                              ; DW_AT_inline
	.byte	11                              ; DW_FORM_data1
	.byte	0                               ; EOM(1)
	.byte	0                               ; EOM(2)
	.byte	3                               ; Abbreviation Code
	.byte	46                              ; DW_TAG_subprogram
	.byte	1                               ; DW_CHILDREN_yes
	.byte	17                              ; DW_AT_low_pc
	.byte	1                               ; DW_FORM_addr
	.byte	18                              ; DW_AT_high_pc
	.byte	6                               ; DW_FORM_data4
	.byte	49                              ; DW_AT_abstract_origin
	.byte	19                              ; DW_FORM_ref4
	.byte	0                               ; EOM(1)
	.byte	0                               ; EOM(2)
	.byte	4                               ; Abbreviation Code
	.byte	29                              ; DW_TAG_inlined_subroutine
	.byte	1                               ; DW_CHILDREN_yes
	.byte	49                              ; DW_AT_abstract_origin
	.byte	19                              ; DW_FORM_ref4
	.byte	85                              ; DW_AT_ranges
	.byte	23                              ; DW_FORM_sec_offset
	.byte	88                              ; DW_AT_call_file
	.byte	11                              ; DW_FORM_data1
	.byte	89                              ; DW_AT_call_line
	.byte	11                              ; DW_FORM_data1
	.byte	87                              ; DW_AT_call_column
	.byte	11                              ; DW_FORM_data1
	.byte	0                               ; EOM(1)
	.byte	0                               ; EOM(2)
	.byte	5                               ; Abbreviation Code
	.byte	29                              ; DW_TAG_inlined_subroutine
	.byte	0                               ; DW_CHILDREN_no
	.byte	49                              ; DW_AT_abstract_origin
	.byte	19                              ; DW_FORM_ref4
	.byte	85                              ; DW_AT_ranges
	.byte	23                              ; DW_FORM_sec_offset
	.byte	88                              ; DW_AT_call_file
	.byte	11                              ; DW_FORM_data1
	.byte	89                              ; DW_AT_call_line
	.byte	11                              ; DW_FORM_data1
	.byte	87                              ; DW_AT_call_column
	.byte	11                              ; DW_FORM_data1
	.byte	0                               ; EOM(1)
	.byte	0                               ; EOM(2)
	.byte	6                               ; Abbreviation Code
	.byte	29                              ; DW_TAG_inlined_subroutine
	.byte	0                               ; DW_CHILDREN_no
	.byte	49                              ; DW_AT_abstract_origin
	.byte	19                              ; DW_FORM_ref4
	.byte	85                              ; DW_AT_ranges
	.byte	23                              ; DW_FORM_sec_offset
	.byte	88                              ; DW_AT_call_file
	.byte	11                              ; DW_FORM_data1
	.byte	89                              ; DW_AT_call_line
	.byte	5                               ; DW_FORM_data2
	.byte	87                              ; DW_AT_call_column
	.byte	11                              ; DW_FORM_data1
	.byte	0                               ; EOM(1)
	.byte	0                               ; EOM(2)
	;; [unrolled: 1-line block ×3, first 2 shown]
	.section	.debug_info,"",@progbits
.Lcu_begin0:
	.long	.Ldebug_info_end0-.Ldebug_info_start0 ; Length of Unit
.Ldebug_info_start0:
	.short	4                               ; DWARF version number
	.long	.debug_abbrev                   ; Offset Into Abbrev. Section
	.byte	8                               ; Address Size (in bytes)
	.byte	1                               ; Abbrev [1] 0xb:0x6b DW_TAG_compile_unit
	.long	.Linfo_string0                  ; DW_AT_producer
	.short	2                               ; DW_AT_language
	.long	.Linfo_string1                  ; DW_AT_name
	.long	.Lline_table_start0             ; DW_AT_stmt_list
	.long	.Linfo_string2                  ; DW_AT_comp_dir
	.quad	.Lfunc_begin0                   ; DW_AT_low_pc
	.long	.Lfunc_end0-.Lfunc_begin0       ; DW_AT_high_pc
	.byte	2                               ; Abbrev [2] 0x2a:0x6 DW_TAG_subprogram
	.long	.Linfo_string3                  ; DW_AT_name
	.byte	1                               ; DW_AT_inline
	.byte	3                               ; Abbrev [3] 0x30:0x45 DW_TAG_subprogram
	.quad	.Lfunc_begin0                   ; DW_AT_low_pc
	.long	.Lfunc_end0-.Lfunc_begin0       ; DW_AT_high_pc
	.long	42                              ; DW_AT_abstract_origin
	.byte	4                               ; Abbrev [4] 0x41:0x19 DW_TAG_inlined_subroutine
	.long	42                              ; DW_AT_abstract_origin
	.long	.Ldebug_ranges0                 ; DW_AT_ranges
	.byte	1                               ; DW_AT_call_file
	.byte	42                              ; DW_AT_call_line
	.byte	23                              ; DW_AT_call_column
	.byte	5                               ; Abbrev [5] 0x4d:0xc DW_TAG_inlined_subroutine
	.long	42                              ; DW_AT_abstract_origin
	.long	.Ldebug_ranges1                 ; DW_AT_ranges
	.byte	2                               ; DW_AT_call_file
	.byte	191                             ; DW_AT_call_line
	.byte	40                              ; DW_AT_call_column
	.byte	0                               ; End Of Children Mark
	.byte	4                               ; Abbrev [4] 0x5a:0x1a DW_TAG_inlined_subroutine
	.long	42                              ; DW_AT_abstract_origin
	.long	.Ldebug_ranges2                 ; DW_AT_ranges
	.byte	1                               ; DW_AT_call_file
	.byte	44                              ; DW_AT_call_line
	.byte	30                              ; DW_AT_call_column
	.byte	6                               ; Abbrev [6] 0x66:0xd DW_TAG_inlined_subroutine
	.long	42                              ; DW_AT_abstract_origin
	.long	.Ldebug_ranges3                 ; DW_AT_ranges
	.byte	2                               ; DW_AT_call_file
	.short	293                             ; DW_AT_call_line
	.byte	36                              ; DW_AT_call_column
	.byte	0                               ; End Of Children Mark
	.byte	0                               ; End Of Children Mark
	;; [unrolled: 1-line block ×3, first 2 shown]
.Ldebug_info_end0:
	.section	.debug_ranges,"",@progbits
.Ldebug_ranges0:
	.quad	.Ltmp2-.Lfunc_begin0
	.quad	.Ltmp16-.Lfunc_begin0
	;; [unrolled: 1-line block ×4, first 2 shown]
	.quad	0
	.quad	0
.Ldebug_ranges1:
	.quad	.Ltmp2-.Lfunc_begin0
	.quad	.Ltmp3-.Lfunc_begin0
	;; [unrolled: 1-line block ×18, first 2 shown]
	.quad	0
	.quad	0
.Ldebug_ranges2:
	.quad	.Ltmp23-.Lfunc_begin0
	.quad	.Ltmp24-.Lfunc_begin0
	;; [unrolled: 1-line block ×12, first 2 shown]
	.quad	0
	.quad	0
.Ldebug_ranges3:
	.quad	.Ltmp25-.Lfunc_begin0
	.quad	.Ltmp26-.Lfunc_begin0
	;; [unrolled: 1-line block ×14, first 2 shown]
	.quad	0
	.quad	0
	.section	.debug_str,"MS",@progbits,1
.Linfo_string0:
	.asciz	"triton"                        ; string offset=0
.Linfo_string1:
	.asciz	"cross_entropy_loss_aot.py"     ; string offset=7
.Linfo_string2:
	.asciz	"/root/src/amdgpu-assembly/repos/FlagOpen__FlagGems/triton_aot_kernels" ; string offset=33
.Linfo_string3:
	.asciz	"celoss_indices_kernel"         ; string offset=103
	.section	".note.GNU-stack","",@progbits
	.amdgpu_metadata
---
amdhsa.kernels:
  - .agpr_count:     0
    .args:
      - .address_space:  global
        .offset:         0
        .size:           8
        .value_kind:     global_buffer
      - .address_space:  global
        .offset:         8
        .size:           8
        .value_kind:     global_buffer
      - .address_space:  global
        .offset:         16
        .size:           8
        .value_kind:     global_buffer
      - .address_space:  global
        .offset:         24
        .size:           8
        .value_kind:     global_buffer
      - .address_space:  global
        .offset:         32
        .size:           8
        .value_kind:     global_buffer
      - .offset:         40
        .size:           4
        .value_kind:     by_value
      - .offset:         44
        .size:           4
        .value_kind:     by_value
      - .offset:         48
        .size:           4
        .value_kind:     by_value
      - .address_space:  global
        .offset:         56
        .size:           8
        .value_kind:     global_buffer
      - .address_space:  global
        .offset:         64
        .size:           8
        .value_kind:     global_buffer
    .group_segment_fixed_size: 0
    .kernarg_segment_align: 8
    .kernarg_segment_size: 72
    .max_flat_workgroup_size: 512
    .name:           celoss_indices_kernel
    .private_segment_fixed_size: 0
    .sgpr_count:     42
    .sgpr_spill_count: 0
    .symbol:         celoss_indices_kernel.kd
    .uniform_work_group_size: 1
    .uses_dynamic_stack: false
    .vgpr_count:     48
    .vgpr_spill_count: 0
    .wavefront_size: 64
amdhsa.target:   amdgcn-amd-amdhsa--gfx950
amdhsa.version:
  - 1
  - 2
...

	.end_amdgpu_metadata
	.section	.debug_line,"",@progbits
.Lline_table_start0:
